;; amdgpu-corpus repo=zjin-lcf/HeCBench kind=compiled arch=gfx1100 opt=O3
	.text
	.amdgcn_target "amdgcn-amd-amdhsa--gfx1100"
	.amdhsa_code_object_version 6
	.protected	_Z13k_cube_selectiiiPKiPi ; -- Begin function _Z13k_cube_selectiiiPKiPi
	.globl	_Z13k_cube_selectiiiPKiPi
	.p2align	8
	.type	_Z13k_cube_selectiiiPKiPi,@function
_Z13k_cube_selectiiiPKiPi:              ; @_Z13k_cube_selectiiiPKiPi
; %bb.0:
	s_load_b64 s[8:9], s[0:1], 0x4
	s_mov_b32 s2, exec_lo
	s_waitcnt lgkmcnt(0)
	v_cmpx_gt_i32_e64 s8, v0
	s_cbranch_execz .LBB0_11
; %bb.1:
	s_clause 0x1
	s_load_b128 s[16:19], s[0:1], 0x10
	s_load_b32 s20, s[0:1], 0x2c
	s_mul_i32 s14, s15, s8
	v_mov_b32_e32 v17, 0
	s_mul_i32 s6, s14, 3
	s_mov_b32 s0, s9
	s_ashr_i32 s7, s6, 31
	s_mov_b32 s1, s9
	s_lshl_b64 s[10:11], s[6:7], 2
	s_mov_b32 s2, s9
	s_mov_b32 s3, s9
	;; [unrolled: 1-line block ×6, first 2 shown]
	s_waitcnt lgkmcnt(0)
	s_add_u32 s12, s16, s10
	s_addc_u32 s13, s17, s11
	s_lshl_b32 s14, s14, 3
	s_mov_b32 s11, 0
	s_ashr_i32 s15, s14, 31
	s_mov_b32 s17, 0
	s_lshl_b64 s[14:15], s[14:15], 2
	s_delay_alu instid0(SALU_CYCLE_1)
	s_add_u32 s14, s18, s14
	s_addc_u32 s15, s19, s15
	s_and_b32 s16, s20, 0xffff
	s_branch .LBB0_3
.LBB0_2:                                ;   in Loop: Header=BB0_3 Depth=1
	v_add_nc_u32_e32 v0, s16, v0
	s_delay_alu instid0(VALU_DEP_1) | instskip(SKIP_1) | instid1(SALU_CYCLE_1)
	v_cmp_le_i32_e32 vcc_lo, s8, v0
	s_or_b32 s17, vcc_lo, s17
	s_and_not1_b32 exec_lo, exec_lo, s17
	s_cbranch_execz .LBB0_11
.LBB0_3:                                ; =>This Loop Header: Depth=1
                                        ;     Child Loop BB0_7 Depth 2
	v_lshl_add_u32 v1, v0, 1, v0
	v_lshlrev_b32_e32 v15, 3, v0
	v_dual_mov_b32 v11, s7 :: v_dual_mov_b32 v6, s2
	v_dual_mov_b32 v3, v0 :: v_dual_mov_b32 v8, s4
	s_delay_alu instid0(VALU_DEP_4) | instskip(NEXT) | instid1(VALU_DEP_4)
	v_ashrrev_i32_e32 v2, 31, v1
	v_ashrrev_i32_e32 v16, 31, v15
	v_dual_mov_b32 v9, s5 :: v_dual_mov_b32 v4, s0
	v_mov_b32_e32 v7, s3
	s_delay_alu instid0(VALU_DEP_4) | instskip(SKIP_4) | instid1(VALU_DEP_3)
	v_lshlrev_b64 v[1:2], 2, v[1:2]
	v_mov_b32_e32 v5, s1
	s_mov_b32 s10, s11
	s_mov_b32 s18, s11
	v_mov_b32_e32 v10, s6
	v_add_co_u32 v1, vcc_lo, s12, v1
	v_add_co_ci_u32_e32 v2, vcc_lo, s13, v2, vcc_lo
	global_load_b96 v[12:14], v[1:2], off
	v_lshlrev_b64 v[1:2], 2, v[15:16]
	s_delay_alu instid0(VALU_DEP_1) | instskip(NEXT) | instid1(VALU_DEP_2)
	v_add_co_u32 v18, vcc_lo, s14, v1
	v_add_co_ci_u32_e32 v19, vcc_lo, s15, v2, vcc_lo
	v_mov_b32_e32 v1, v0
	v_mov_b32_e32 v2, v0
	s_clause 0x1
	global_store_b128 v[18:19], v[0:3], off
	global_store_b128 v[18:19], v[0:3], off offset:16
	s_branch .LBB0_7
.LBB0_4:                                ;   in Loop: Header=BB0_7 Depth=2
	s_or_b32 exec_lo, exec_lo, s21
.LBB0_5:                                ;   in Loop: Header=BB0_7 Depth=2
	s_delay_alu instid0(SALU_CYCLE_1)
	s_or_b32 exec_lo, exec_lo, s20
.LBB0_6:                                ;   in Loop: Header=BB0_7 Depth=2
	s_delay_alu instid0(SALU_CYCLE_1)
	s_or_b32 exec_lo, exec_lo, s19
	s_add_i32 s18, s18, 1
	s_add_i32 s10, s10, 3
	s_cmp_eq_u32 s8, s18
	s_cbranch_scc1 .LBB0_2
.LBB0_7:                                ;   Parent Loop BB0_3 Depth=1
                                        ; =>  This Inner Loop Header: Depth=2
	s_mov_b32 s19, exec_lo
	v_cmpx_ne_u32_e64 s18, v0
	s_cbranch_execz .LBB0_6
; %bb.8:                                ;   in Loop: Header=BB0_7 Depth=2
	s_lshl_b64 s[20:21], s[10:11], 2
	s_delay_alu instid0(SALU_CYCLE_1)
	s_add_u32 s20, s12, s20
	s_addc_u32 s21, s13, s21
	global_load_b96 v[1:3], v17, s[20:21]
	s_mov_b32 s20, exec_lo
	s_waitcnt vmcnt(0)
	v_sub_nc_u32_e32 v16, v12, v1
	v_sub_nc_u32_e32 v18, v13, v2
	;; [unrolled: 1-line block ×3, first 2 shown]
	s_delay_alu instid0(VALU_DEP_3) | instskip(NEXT) | instid1(VALU_DEP_3)
	v_mul_lo_u32 v16, v16, v16
	v_mul_lo_u32 v18, v18, v18
	s_delay_alu instid0(VALU_DEP_3) | instskip(NEXT) | instid1(VALU_DEP_1)
	v_mul_lo_u32 v19, v19, v19
	v_add3_u32 v16, v18, v16, v19
	s_delay_alu instid0(VALU_DEP_1)
	v_cmpx_ge_i32_e64 s9, v16
	s_cbranch_execz .LBB0_5
; %bb.9:                                ;   in Loop: Header=BB0_7 Depth=2
	v_cmp_lt_i32_e32 vcc_lo, v12, v1
	s_mov_b32 s21, exec_lo
	v_cndmask_b32_e64 v1, 0, 1, vcc_lo
	v_cmp_lt_i32_e32 vcc_lo, v13, v2
	s_delay_alu instid0(VALU_DEP_2) | instskip(SKIP_2) | instid1(VALU_DEP_2)
	v_lshlrev_b32_e32 v1, 2, v1
	v_cndmask_b32_e64 v2, 0, 1, vcc_lo
	v_cmp_lt_i32_e32 vcc_lo, v14, v3
	v_lshlrev_b32_e32 v2, 1, v2
	v_cndmask_b32_e64 v3, 0, 1, vcc_lo
	s_delay_alu instid0(VALU_DEP_1) | instskip(NEXT) | instid1(VALU_DEP_1)
	v_or3_b32 v1, v2, v1, v3
	v_cmp_eq_u32_e32 vcc_lo, 1, v1
	v_cndmask_b32_e32 v2, v4, v5, vcc_lo
	v_cmp_eq_u32_e32 vcc_lo, 2, v1
	s_delay_alu instid0(VALU_DEP_2) | instskip(SKIP_1) | instid1(VALU_DEP_2)
	v_cndmask_b32_e32 v2, v2, v6, vcc_lo
	v_cmp_eq_u32_e32 vcc_lo, 3, v1
	v_cndmask_b32_e32 v2, v2, v7, vcc_lo
	v_cmp_eq_u32_e32 vcc_lo, 4, v1
	s_delay_alu instid0(VALU_DEP_2) | instskip(SKIP_1) | instid1(VALU_DEP_2)
	v_cndmask_b32_e32 v2, v2, v8, vcc_lo
	;; [unrolled: 5-line block ×3, first 2 shown]
	v_cmp_eq_u32_e32 vcc_lo, 7, v1
	v_cndmask_b32_e32 v2, v2, v11, vcc_lo
	s_delay_alu instid0(VALU_DEP_1)
	v_cmpx_lt_i32_e64 v16, v2
	s_cbranch_execz .LBB0_4
; %bb.10:                               ;   in Loop: Header=BB0_7 Depth=2
	v_cmp_eq_u32_e32 vcc_lo, 7, v1
	v_or_b32_e32 v2, v1, v15
	v_dual_mov_b32 v18, s18 :: v_dual_cndmask_b32 v11, v11, v16
	v_cmp_eq_u32_e32 vcc_lo, 6, v1
	s_delay_alu instid0(VALU_DEP_3) | instskip(SKIP_2) | instid1(VALU_DEP_3)
	v_ashrrev_i32_e32 v3, 31, v2
	v_cndmask_b32_e32 v10, v10, v16, vcc_lo
	v_cmp_eq_u32_e32 vcc_lo, 5, v1
	v_lshlrev_b64 v[2:3], 2, v[2:3]
	v_cndmask_b32_e32 v9, v9, v16, vcc_lo
	v_cmp_eq_u32_e32 vcc_lo, 4, v1
	v_cndmask_b32_e32 v8, v8, v16, vcc_lo
	v_cmp_eq_u32_e32 vcc_lo, 3, v1
	;; [unrolled: 2-line block ×4, first 2 shown]
	v_cndmask_b32_e32 v5, v5, v16, vcc_lo
	v_add_co_u32 v2, vcc_lo, s14, v2
	v_add_co_ci_u32_e32 v3, vcc_lo, s15, v3, vcc_lo
	v_cmp_eq_u32_e32 vcc_lo, 0, v1
	global_store_b32 v[2:3], v18, off
	v_cndmask_b32_e32 v4, v4, v16, vcc_lo
	s_branch .LBB0_4
.LBB0_11:
	s_nop 0
	s_sendmsg sendmsg(MSG_DEALLOC_VGPRS)
	s_endpgm
	.section	.rodata,"a",@progbits
	.p2align	6, 0x0
	.amdhsa_kernel _Z13k_cube_selectiiiPKiPi
		.amdhsa_group_segment_fixed_size 0
		.amdhsa_private_segment_fixed_size 0
		.amdhsa_kernarg_size 288
		.amdhsa_user_sgpr_count 15
		.amdhsa_user_sgpr_dispatch_ptr 0
		.amdhsa_user_sgpr_queue_ptr 0
		.amdhsa_user_sgpr_kernarg_segment_ptr 1
		.amdhsa_user_sgpr_dispatch_id 0
		.amdhsa_user_sgpr_private_segment_size 0
		.amdhsa_wavefront_size32 1
		.amdhsa_uses_dynamic_stack 0
		.amdhsa_enable_private_segment 0
		.amdhsa_system_sgpr_workgroup_id_x 1
		.amdhsa_system_sgpr_workgroup_id_y 0
		.amdhsa_system_sgpr_workgroup_id_z 0
		.amdhsa_system_sgpr_workgroup_info 0
		.amdhsa_system_vgpr_workitem_id 0
		.amdhsa_next_free_vgpr 20
		.amdhsa_next_free_sgpr 22
		.amdhsa_reserve_vcc 1
		.amdhsa_float_round_mode_32 0
		.amdhsa_float_round_mode_16_64 0
		.amdhsa_float_denorm_mode_32 3
		.amdhsa_float_denorm_mode_16_64 3
		.amdhsa_dx10_clamp 1
		.amdhsa_ieee_mode 1
		.amdhsa_fp16_overflow 0
		.amdhsa_workgroup_processor_mode 1
		.amdhsa_memory_ordered 1
		.amdhsa_forward_progress 0
		.amdhsa_shared_vgpr_count 0
		.amdhsa_exception_fp_ieee_invalid_op 0
		.amdhsa_exception_fp_denorm_src 0
		.amdhsa_exception_fp_ieee_div_zero 0
		.amdhsa_exception_fp_ieee_overflow 0
		.amdhsa_exception_fp_ieee_underflow 0
		.amdhsa_exception_fp_ieee_inexact 0
		.amdhsa_exception_int_div_zero 0
	.end_amdhsa_kernel
	.text
.Lfunc_end0:
	.size	_Z13k_cube_selectiiiPKiPi, .Lfunc_end0-_Z13k_cube_selectiiiPKiPi
                                        ; -- End function
	.section	.AMDGPU.csdata,"",@progbits
; Kernel info:
; codeLenInByte = 760
; NumSgprs: 24
; NumVgprs: 20
; ScratchSize: 0
; MemoryBound: 0
; FloatMode: 240
; IeeeMode: 1
; LDSByteSize: 0 bytes/workgroup (compile time only)
; SGPRBlocks: 2
; VGPRBlocks: 2
; NumSGPRsForWavesPerEU: 24
; NumVGPRsForWavesPerEU: 20
; Occupancy: 16
; WaveLimiterHint : 0
; COMPUTE_PGM_RSRC2:SCRATCH_EN: 0
; COMPUTE_PGM_RSRC2:USER_SGPR: 15
; COMPUTE_PGM_RSRC2:TRAP_HANDLER: 0
; COMPUTE_PGM_RSRC2:TGID_X_EN: 1
; COMPUTE_PGM_RSRC2:TGID_Y_EN: 0
; COMPUTE_PGM_RSRC2:TGID_Z_EN: 0
; COMPUTE_PGM_RSRC2:TIDIG_COMP_CNT: 0
	.text
	.protected	_Z17k_cube_select_twoiiiPKiPi ; -- Begin function _Z17k_cube_select_twoiiiPKiPi
	.globl	_Z17k_cube_select_twoiiiPKiPi
	.p2align	8
	.type	_Z17k_cube_select_twoiiiPKiPi,@function
_Z17k_cube_select_twoiiiPKiPi:          ; @_Z17k_cube_select_twoiiiPKiPi
; %bb.0:
	s_load_b64 s[16:17], s[0:1], 0x4
	s_mov_b32 s2, exec_lo
	s_waitcnt lgkmcnt(0)
	v_cmpx_gt_i32_e64 s16, v0
	s_cbranch_execz .LBB1_15
; %bb.1:
	s_clause 0x1
	s_load_b128 s[20:23], s[0:1], 0x10
	s_load_b32 s24, s[0:1], 0x2c
	s_mul_i32 s14, s15, s16
	v_mov_b32_e32 v26, 0
	s_mul_i32 s12, s14, 3
	s_mov_b32 s0, s17
	s_ashr_i32 s13, s12, 31
	s_mov_b32 s1, s17
	s_lshl_b64 s[12:13], s[12:13], 2
	s_mov_b32 s2, s17
	s_mov_b32 s3, s17
	;; [unrolled: 1-line block ×11, first 2 shown]
	s_waitcnt lgkmcnt(0)
	s_add_u32 s20, s20, s12
	s_addc_u32 s21, s21, s13
	s_lshl_b32 s14, s14, 4
	s_mov_b32 s12, s17
	s_ashr_i32 s15, s14, 31
	s_mov_b32 s13, s17
	s_lshl_b64 s[18:19], s[14:15], 2
	s_mov_b32 s14, s17
	s_add_u32 s22, s22, s18
	s_addc_u32 s23, s23, s19
	s_and_b32 s24, s24, 0xffff
	s_mov_b32 s15, s17
	s_mov_b32 s19, 0
	s_branch .LBB1_3
.LBB1_2:                                ;   in Loop: Header=BB1_3 Depth=1
	v_add_nc_u32_e32 v0, s24, v0
	s_delay_alu instid0(VALU_DEP_1) | instskip(SKIP_1) | instid1(SALU_CYCLE_1)
	v_cmp_le_i32_e32 vcc_lo, s16, v0
	s_or_b32 s25, vcc_lo, s25
	s_and_not1_b32 exec_lo, exec_lo, s25
	s_cbranch_execz .LBB1_15
.LBB1_3:                                ; =>This Loop Header: Depth=1
                                        ;     Child Loop BB1_8 Depth 2
	v_lshl_add_u32 v1, v0, 1, v0
	v_lshlrev_b32_e32 v23, 4, v0
	v_dual_mov_b32 v19, s15 :: v_dual_mov_b32 v14, s10
	v_dual_mov_b32 v3, v0 :: v_dual_mov_b32 v16, s12
	s_delay_alu instid0(VALU_DEP_4) | instskip(NEXT) | instid1(VALU_DEP_4)
	v_ashrrev_i32_e32 v2, 31, v1
	v_ashrrev_i32_e32 v24, 31, v23
	v_dual_mov_b32 v17, s13 :: v_dual_mov_b32 v12, s8
	v_dual_mov_b32 v15, s11 :: v_dual_mov_b32 v10, s6
	s_delay_alu instid0(VALU_DEP_4) | instskip(SKIP_3) | instid1(VALU_DEP_4)
	v_lshlrev_b64 v[1:2], 2, v[1:2]
	v_dual_mov_b32 v13, s9 :: v_dual_mov_b32 v8, s4
	v_dual_mov_b32 v11, s7 :: v_dual_mov_b32 v6, s2
	;; [unrolled: 1-line block ×3, first 2 shown]
	v_add_co_u32 v1, vcc_lo, s20, v1
	v_add_co_ci_u32_e32 v2, vcc_lo, s21, v2, vcc_lo
	v_mov_b32_e32 v7, s3
	v_mov_b32_e32 v5, s1
	s_mov_b32 s18, s19
	global_load_b96 v[20:22], v[1:2], off
	v_lshlrev_b64 v[1:2], 2, v[23:24]
	s_mov_b32 s26, s19
	v_mov_b32_e32 v18, s14
	s_delay_alu instid0(VALU_DEP_2) | instskip(NEXT) | instid1(VALU_DEP_3)
	v_add_co_u32 v24, vcc_lo, s22, v1
	v_add_co_ci_u32_e32 v25, vcc_lo, s23, v2, vcc_lo
	v_mov_b32_e32 v1, v0
	v_mov_b32_e32 v2, v0
	s_clause 0x3
	global_store_b128 v[24:25], v[0:3], off
	global_store_b128 v[24:25], v[0:3], off offset:16
	global_store_b128 v[24:25], v[0:3], off offset:32
	;; [unrolled: 1-line block ×3, first 2 shown]
	s_branch .LBB1_8
.LBB1_4:                                ;   in Loop: Header=BB1_8 Depth=2
	s_or_b32 exec_lo, exec_lo, s31
	v_cmp_eq_u32_e32 vcc_lo, 15, v1
	v_or_b32_e32 v2, v29, v24
	v_dual_mov_b32 v24, s26 :: v_dual_cndmask_b32 v19, v19, v27
	v_cmp_eq_u32_e32 vcc_lo, 14, v1
	s_delay_alu instid0(VALU_DEP_3) | instskip(SKIP_2) | instid1(VALU_DEP_3)
	v_ashrrev_i32_e32 v3, 31, v2
	v_cndmask_b32_e32 v18, v18, v27, vcc_lo
	v_cmp_eq_u32_e32 vcc_lo, 13, v1
	v_lshlrev_b64 v[2:3], 2, v[2:3]
	v_cndmask_b32_e32 v17, v17, v27, vcc_lo
	v_cmp_eq_u32_e32 vcc_lo, 12, v1
	v_cndmask_b32_e32 v16, v16, v27, vcc_lo
	s_delay_alu instid0(VALU_DEP_4)
	v_add_co_u32 v2, vcc_lo, s22, v2
	v_add_co_ci_u32_e32 v3, vcc_lo, s23, v3, vcc_lo
	v_cmp_eq_u32_e32 vcc_lo, 11, v1
	global_store_b32 v[2:3], v24, off
	v_cndmask_b32_e32 v15, v15, v27, vcc_lo
	v_cmp_eq_u32_e32 vcc_lo, 10, v1
	v_cndmask_b32_e32 v14, v14, v27, vcc_lo
	v_cmp_eq_u32_e32 vcc_lo, 9, v1
	;; [unrolled: 2-line block ×11, first 2 shown]
	v_cndmask_b32_e32 v4, v4, v27, vcc_lo
.LBB1_5:                                ;   in Loop: Header=BB1_8 Depth=2
	s_or_b32 exec_lo, exec_lo, s29
.LBB1_6:                                ;   in Loop: Header=BB1_8 Depth=2
	s_delay_alu instid0(SALU_CYCLE_1)
	s_or_b32 exec_lo, exec_lo, s28
.LBB1_7:                                ;   in Loop: Header=BB1_8 Depth=2
	s_delay_alu instid0(SALU_CYCLE_1)
	s_or_b32 exec_lo, exec_lo, s27
	s_add_i32 s26, s26, 1
	s_add_i32 s18, s18, 3
	s_cmp_eq_u32 s16, s26
	s_cbranch_scc1 .LBB1_2
.LBB1_8:                                ;   Parent Loop BB1_3 Depth=1
                                        ; =>  This Inner Loop Header: Depth=2
	s_mov_b32 s27, exec_lo
	v_cmpx_ne_u32_e64 s26, v0
	s_cbranch_execz .LBB1_7
; %bb.9:                                ;   in Loop: Header=BB1_8 Depth=2
	s_lshl_b64 s[28:29], s[18:19], 2
	s_delay_alu instid0(SALU_CYCLE_1)
	s_add_u32 s28, s20, s28
	s_addc_u32 s29, s21, s29
	global_load_b96 v[1:3], v26, s[28:29]
	s_mov_b32 s28, exec_lo
	s_waitcnt vmcnt(0)
	v_sub_nc_u32_e32 v24, v20, v1
	v_sub_nc_u32_e32 v25, v21, v2
	;; [unrolled: 1-line block ×3, first 2 shown]
	s_delay_alu instid0(VALU_DEP_3) | instskip(NEXT) | instid1(VALU_DEP_3)
	v_mul_lo_u32 v24, v24, v24
	v_mul_lo_u32 v25, v25, v25
	s_delay_alu instid0(VALU_DEP_3) | instskip(NEXT) | instid1(VALU_DEP_1)
	v_mul_lo_u32 v27, v27, v27
	v_add3_u32 v27, v25, v24, v27
	s_delay_alu instid0(VALU_DEP_1)
	v_cmpx_ge_i32_e64 s17, v27
	s_cbranch_execz .LBB1_6
; %bb.10:                               ;   in Loop: Header=BB1_8 Depth=2
	v_cmp_lt_i32_e32 vcc_lo, v20, v1
	s_mov_b32 s29, exec_lo
	v_mov_b32_e32 v29, 0
	v_cndmask_b32_e64 v1, 0, 1, vcc_lo
	v_cmp_lt_i32_e32 vcc_lo, v21, v2
	s_delay_alu instid0(VALU_DEP_2) | instskip(SKIP_2) | instid1(VALU_DEP_2)
	v_lshlrev_b32_e32 v1, 3, v1
	v_cndmask_b32_e64 v2, 0, 1, vcc_lo
	v_cmp_lt_i32_e32 vcc_lo, v22, v3
	v_lshlrev_b32_e32 v2, 2, v2
	v_cndmask_b32_e64 v3, 0, 1, vcc_lo
	s_delay_alu instid0(VALU_DEP_1) | instskip(NEXT) | instid1(VALU_DEP_1)
	v_lshlrev_b32_e32 v3, 1, v3
	v_or3_b32 v3, v2, v1, v3
	s_delay_alu instid0(VALU_DEP_1) | instskip(SKIP_2) | instid1(VALU_DEP_2)
	v_cmp_eq_u32_e32 vcc_lo, 1, v3
	v_cndmask_b32_e32 v1, v4, v5, vcc_lo
	v_cmp_eq_u32_e32 vcc_lo, 2, v3
	v_cndmask_b32_e32 v1, v1, v6, vcc_lo
	v_cmp_eq_u32_e32 vcc_lo, 3, v3
	s_delay_alu instid0(VALU_DEP_2) | instskip(SKIP_1) | instid1(VALU_DEP_2)
	v_cndmask_b32_e32 v1, v1, v7, vcc_lo
	v_cmp_eq_u32_e32 vcc_lo, 4, v3
	v_cndmask_b32_e32 v1, v1, v8, vcc_lo
	v_cmp_eq_u32_e32 vcc_lo, 5, v3
	s_delay_alu instid0(VALU_DEP_2) | instskip(SKIP_1) | instid1(VALU_DEP_2)
	;; [unrolled: 5-line block ×7, first 2 shown]
	v_dual_cndmask_b32 v28, v1, v19 :: v_dual_mov_b32 v1, v3
	v_mov_b32_e32 v2, v4
	v_cmp_lt_i32_e64 s30, v27, v28
	s_delay_alu instid0(VALU_DEP_1)
	s_mov_b32 s31, s30
	v_cmpx_ge_i32_e64 v27, v28
	s_cbranch_execz .LBB1_12
; %bb.11:                               ;   in Loop: Header=BB1_8 Depth=2
	v_or_b32_e32 v1, 1, v3
	s_and_not1_b32 s31, s30, exec_lo
	v_mov_b32_e32 v29, 1
	s_delay_alu instid0(VALU_DEP_2) | instskip(SKIP_2) | instid1(VALU_DEP_2)
	v_cmp_eq_u32_e32 vcc_lo, 1, v1
	v_cndmask_b32_e32 v2, v4, v5, vcc_lo
	v_cmp_eq_u32_e32 vcc_lo, 2, v1
	v_cndmask_b32_e32 v2, v2, v6, vcc_lo
	v_cmp_eq_u32_e32 vcc_lo, 3, v1
	s_delay_alu instid0(VALU_DEP_2) | instskip(SKIP_1) | instid1(VALU_DEP_2)
	v_cndmask_b32_e32 v2, v2, v7, vcc_lo
	v_cmp_eq_u32_e32 vcc_lo, 4, v1
	v_cndmask_b32_e32 v2, v2, v8, vcc_lo
	v_cmp_eq_u32_e32 vcc_lo, 5, v1
	s_delay_alu instid0(VALU_DEP_2) | instskip(SKIP_1) | instid1(VALU_DEP_2)
	;; [unrolled: 5-line block ×6, first 2 shown]
	v_cndmask_b32_e32 v2, v2, v17, vcc_lo
	v_cmp_eq_u32_e32 vcc_lo, 14, v1
	v_cndmask_b32_e32 v2, v2, v18, vcc_lo
	v_cmp_eq_u32_e32 vcc_lo, 15, v1
	s_delay_alu instid0(VALU_DEP_2) | instskip(NEXT) | instid1(VALU_DEP_1)
	v_cndmask_b32_e32 v2, v2, v19, vcc_lo
	v_cmp_lt_i32_e32 vcc_lo, v27, v2
	s_and_b32 s33, vcc_lo, exec_lo
	s_delay_alu instid0(SALU_CYCLE_1)
	s_or_b32 s31, s31, s33
.LBB1_12:                               ;   in Loop: Header=BB1_8 Depth=2
	s_or_b32 exec_lo, exec_lo, s29
	s_and_saveexec_b32 s29, s31
	s_cbranch_execz .LBB1_5
; %bb.13:                               ;   in Loop: Header=BB1_8 Depth=2
	v_or_b32_e32 v24, v3, v23
	s_and_saveexec_b32 s31, s30
	s_cbranch_execz .LBB1_4
; %bb.14:                               ;   in Loop: Header=BB1_8 Depth=2
	s_delay_alu instid0(VALU_DEP_1) | instskip(SKIP_1) | instid1(VALU_DEP_2)
	v_ashrrev_i32_e32 v25, 31, v24
	v_or_b32_e32 v3, 1, v3
	v_lshlrev_b64 v[30:31], 2, v[24:25]
	s_delay_alu instid0(VALU_DEP_1) | instskip(NEXT) | instid1(VALU_DEP_2)
	v_add_co_u32 v30, vcc_lo, s22, v30
	v_add_co_ci_u32_e32 v31, vcc_lo, s23, v31, vcc_lo
	s_delay_alu instid0(VALU_DEP_4)
	v_cmp_eq_u32_e32 vcc_lo, 15, v3
	global_load_b32 v2, v[30:31], off
	v_cndmask_b32_e32 v19, v19, v28, vcc_lo
	v_cmp_eq_u32_e32 vcc_lo, 14, v3
	v_cndmask_b32_e32 v18, v18, v28, vcc_lo
	v_cmp_eq_u32_e32 vcc_lo, 13, v3
	;; [unrolled: 2-line block ×15, first 2 shown]
	v_cndmask_b32_e32 v4, v4, v28, vcc_lo
	s_waitcnt vmcnt(0)
	global_store_b32 v[30:31], v2, off offset:4
	s_branch .LBB1_4
.LBB1_15:
	s_nop 0
	s_sendmsg sendmsg(MSG_DEALLOC_VGPRS)
	s_endpgm
	.section	.rodata,"a",@progbits
	.p2align	6, 0x0
	.amdhsa_kernel _Z17k_cube_select_twoiiiPKiPi
		.amdhsa_group_segment_fixed_size 0
		.amdhsa_private_segment_fixed_size 0
		.amdhsa_kernarg_size 288
		.amdhsa_user_sgpr_count 15
		.amdhsa_user_sgpr_dispatch_ptr 0
		.amdhsa_user_sgpr_queue_ptr 0
		.amdhsa_user_sgpr_kernarg_segment_ptr 1
		.amdhsa_user_sgpr_dispatch_id 0
		.amdhsa_user_sgpr_private_segment_size 0
		.amdhsa_wavefront_size32 1
		.amdhsa_uses_dynamic_stack 0
		.amdhsa_enable_private_segment 0
		.amdhsa_system_sgpr_workgroup_id_x 1
		.amdhsa_system_sgpr_workgroup_id_y 0
		.amdhsa_system_sgpr_workgroup_id_z 0
		.amdhsa_system_sgpr_workgroup_info 0
		.amdhsa_system_vgpr_workitem_id 0
		.amdhsa_next_free_vgpr 32
		.amdhsa_next_free_sgpr 34
		.amdhsa_reserve_vcc 1
		.amdhsa_float_round_mode_32 0
		.amdhsa_float_round_mode_16_64 0
		.amdhsa_float_denorm_mode_32 3
		.amdhsa_float_denorm_mode_16_64 3
		.amdhsa_dx10_clamp 1
		.amdhsa_ieee_mode 1
		.amdhsa_fp16_overflow 0
		.amdhsa_workgroup_processor_mode 1
		.amdhsa_memory_ordered 1
		.amdhsa_forward_progress 0
		.amdhsa_shared_vgpr_count 0
		.amdhsa_exception_fp_ieee_invalid_op 0
		.amdhsa_exception_fp_denorm_src 0
		.amdhsa_exception_fp_ieee_div_zero 0
		.amdhsa_exception_fp_ieee_overflow 0
		.amdhsa_exception_fp_ieee_underflow 0
		.amdhsa_exception_fp_ieee_inexact 0
		.amdhsa_exception_int_div_zero 0
	.end_amdhsa_kernel
	.text
.Lfunc_end1:
	.size	_Z17k_cube_select_twoiiiPKiPi, .Lfunc_end1-_Z17k_cube_select_twoiiiPKiPi
                                        ; -- End function
	.section	.AMDGPU.csdata,"",@progbits
; Kernel info:
; codeLenInByte = 1412
; NumSgprs: 36
; NumVgprs: 32
; ScratchSize: 0
; MemoryBound: 0
; FloatMode: 240
; IeeeMode: 1
; LDSByteSize: 0 bytes/workgroup (compile time only)
; SGPRBlocks: 4
; VGPRBlocks: 3
; NumSGPRsForWavesPerEU: 36
; NumVGPRsForWavesPerEU: 32
; Occupancy: 16
; WaveLimiterHint : 0
; COMPUTE_PGM_RSRC2:SCRATCH_EN: 0
; COMPUTE_PGM_RSRC2:USER_SGPR: 15
; COMPUTE_PGM_RSRC2:TRAP_HANDLER: 0
; COMPUTE_PGM_RSRC2:TGID_X_EN: 1
; COMPUTE_PGM_RSRC2:TGID_Y_EN: 0
; COMPUTE_PGM_RSRC2:TGID_Z_EN: 0
; COMPUTE_PGM_RSRC2:TIDIG_COMP_CNT: 0
	.text
	.protected	_Z18k_cube_select_fouriiiPKiPi ; -- Begin function _Z18k_cube_select_fouriiiPKiPi
	.globl	_Z18k_cube_select_fouriiiPKiPi
	.p2align	8
	.type	_Z18k_cube_select_fouriiiPKiPi,@function
_Z18k_cube_select_fouriiiPKiPi:         ; @_Z18k_cube_select_fouriiiPKiPi
; %bb.0:
	s_load_b64 s[2:3], s[0:1], 0x4
	s_mov_b32 s4, exec_lo
	s_waitcnt lgkmcnt(0)
	v_cmpx_gt_i32_e64 s2, v0
	s_cbranch_execz .LBB2_18
; %bb.1:
	s_clause 0x1
	s_load_b128 s[8:11], s[0:1], 0x10
	s_load_b32 s4, s[0:1], 0x2c
	s_mul_i32 s5, s15, s2
	s_mov_b32 s12, s3
	s_mul_i32 s0, s5, 3
	s_mov_b32 s13, s3
	s_ashr_i32 s1, s0, 31
	s_mov_b32 s14, s3
	s_lshl_b64 s[0:1], s[0:1], 2
	s_mov_b32 s15, s3
	v_dual_mov_b32 v4, s12 :: v_dual_mov_b32 v5, s13
	v_or_b32_e64 v13, 0, 8
	v_dual_mov_b32 v15, 0 :: v_dual_lshlrev_b32 v14, 5, v0
	v_dual_mov_b32 v6, s14 :: v_dual_mov_b32 v7, s15
	s_mov_b32 s12, 0
	s_waitcnt lgkmcnt(0)
	s_add_u32 s6, s8, s0
	s_addc_u32 s7, s9, s1
	s_lshl_b32 s0, s5, 5
	s_mov_b32 s5, 0
	s_ashr_i32 s1, s0, 31
	s_delay_alu instid0(SALU_CYCLE_1) | instskip(NEXT) | instid1(SALU_CYCLE_1)
	s_lshl_b64 s[0:1], s[0:1], 2
	s_add_u32 s8, s10, s0
	s_addc_u32 s9, s11, s1
	s_and_b32 s10, s4, 0xffff
	s_delay_alu instid0(SALU_CYCLE_1)
	s_lshl_b32 s11, s10, 5
	s_branch .LBB2_3
.LBB2_2:                                ;   in Loop: Header=BB2_3 Depth=1
	v_add_nc_u32_e32 v0, s10, v0
	v_add_nc_u32_e32 v14, s11, v14
	s_delay_alu instid0(VALU_DEP_2) | instskip(SKIP_1) | instid1(SALU_CYCLE_1)
	v_cmp_le_i32_e32 vcc_lo, s2, v0
	s_or_b32 s12, vcc_lo, s12
	s_and_not1_b32 exec_lo, exec_lo, s12
	s_cbranch_execz .LBB2_18
.LBB2_3:                                ; =>This Loop Header: Depth=1
                                        ;     Child Loop BB2_6 Depth 2
                                        ;       Child Loop BB2_17 Depth 3
	v_lshl_add_u32 v1, v0, 1, v0
	v_lshlrev_b32_e32 v11, 5, v0
	v_mov_b32_e32 v3, v0
	s_mov_b32 s13, s5
	s_delay_alu instid0(VALU_DEP_3) | instskip(NEXT) | instid1(VALU_DEP_3)
	v_ashrrev_i32_e32 v2, 31, v1
	v_ashrrev_i32_e32 v12, 31, v11
	s_delay_alu instid0(VALU_DEP_2) | instskip(NEXT) | instid1(VALU_DEP_1)
	v_lshlrev_b64 v[1:2], 2, v[1:2]
	v_add_co_u32 v1, vcc_lo, s6, v1
	s_delay_alu instid0(VALU_DEP_2) | instskip(SKIP_2) | instid1(VALU_DEP_1)
	v_add_co_ci_u32_e32 v2, vcc_lo, s7, v2, vcc_lo
	global_load_b96 v[8:10], v[1:2], off
	v_lshlrev_b64 v[1:2], 2, v[11:12]
	v_add_co_u32 v16, vcc_lo, s8, v1
	s_delay_alu instid0(VALU_DEP_2)
	v_add_co_ci_u32_e32 v17, vcc_lo, s9, v2, vcc_lo
	v_mov_b32_e32 v2, v0
	v_mov_b32_e32 v1, v0
	s_clause 0x1
	scratch_store_b128 off, v[4:7], off
	scratch_store_b128 off, v[4:7], off offset:16
	s_clause 0x1
	global_store_b128 v[16:17], v[0:3], off
	global_store_b128 v[16:17], v[0:3], off offset:16
	s_clause 0x1
	scratch_store_b128 off, v[4:7], off offset:32
	scratch_store_b128 off, v[4:7], off offset:48
	s_clause 0x1
	global_store_b128 v[16:17], v[0:3], off offset:32
	global_store_b128 v[16:17], v[0:3], off offset:48
	s_clause 0x1
	scratch_store_b128 off, v[4:7], off offset:64
	scratch_store_b128 off, v[4:7], off offset:80
	s_clause 0x1
	global_store_b128 v[16:17], v[0:3], off offset:64
	;; [unrolled: 6-line block ×3, first 2 shown]
	global_store_b128 v[16:17], v[0:3], off offset:112
	s_branch .LBB2_6
.LBB2_4:                                ;   in Loop: Header=BB2_6 Depth=2
	s_or_b32 exec_lo, exec_lo, s0
	v_or3_b32 v1, v1, v11, v2
	v_mov_b32_e32 v16, s13
	s_delay_alu instid0(VALU_DEP_2) | instskip(NEXT) | instid1(VALU_DEP_1)
	v_ashrrev_i32_e32 v2, 31, v1
	v_lshlrev_b64 v[1:2], 2, v[1:2]
	s_delay_alu instid0(VALU_DEP_1) | instskip(NEXT) | instid1(VALU_DEP_2)
	v_add_co_u32 v1, vcc_lo, s8, v1
	v_add_co_ci_u32_e32 v2, vcc_lo, s9, v2, vcc_lo
	global_store_b32 v[1:2], v16, off
	scratch_store_b32 v3, v12, off
.LBB2_5:                                ;   in Loop: Header=BB2_6 Depth=2
	s_or_b32 exec_lo, exec_lo, s14
	s_add_i32 s13, s13, 1
	s_delay_alu instid0(SALU_CYCLE_1)
	s_cmp_eq_u32 s13, s2
	s_cbranch_scc1 .LBB2_2
.LBB2_6:                                ;   Parent Loop BB2_3 Depth=1
                                        ; =>  This Loop Header: Depth=2
                                        ;       Child Loop BB2_17 Depth 3
	s_mov_b32 s14, exec_lo
	v_cmpx_ne_u32_e64 s13, v0
	s_cbranch_execz .LBB2_5
; %bb.7:                                ;   in Loop: Header=BB2_6 Depth=2
	s_mul_i32 s4, s13, 3
	s_delay_alu instid0(SALU_CYCLE_1) | instskip(NEXT) | instid1(SALU_CYCLE_1)
	s_lshl_b64 s[0:1], s[4:5], 2
	s_add_u32 s0, s6, s0
	s_addc_u32 s1, s7, s1
	global_load_b96 v[1:3], v15, s[0:1]
	s_waitcnt vmcnt(0)
	v_sub_nc_u32_e32 v12, v8, v1
	v_sub_nc_u32_e32 v16, v9, v2
	;; [unrolled: 1-line block ×3, first 2 shown]
	s_delay_alu instid0(VALU_DEP_3) | instskip(NEXT) | instid1(VALU_DEP_3)
	v_mul_lo_u32 v12, v12, v12
	v_mul_lo_u32 v16, v16, v16
	s_delay_alu instid0(VALU_DEP_3) | instskip(NEXT) | instid1(VALU_DEP_1)
	v_mul_lo_u32 v17, v17, v17
	v_add3_u32 v12, v16, v12, v17
	s_delay_alu instid0(VALU_DEP_1)
	v_cmp_ge_i32_e32 vcc_lo, s3, v12
	s_and_b32 exec_lo, exec_lo, vcc_lo
	s_cbranch_execz .LBB2_5
; %bb.8:                                ;   in Loop: Header=BB2_6 Depth=2
	v_cmp_lt_i32_e32 vcc_lo, v8, v1
	s_mov_b32 s1, -1
	s_mov_b32 s4, exec_lo
	v_cndmask_b32_e64 v1, 0, 1, vcc_lo
	v_cmp_lt_i32_e32 vcc_lo, v9, v2
	s_delay_alu instid0(VALU_DEP_2) | instskip(SKIP_2) | instid1(VALU_DEP_2)
	v_lshlrev_b32_e32 v17, 4, v1
	v_cndmask_b32_e64 v2, 0, 1, vcc_lo
	v_cmp_lt_i32_e32 vcc_lo, v10, v3
	v_lshlrev_b32_e32 v16, 3, v2
	v_cndmask_b32_e64 v3, 0, 1, vcc_lo
	s_delay_alu instid0(VALU_DEP_1) | instskip(NEXT) | instid1(VALU_DEP_1)
	v_lshlrev_b32_e32 v18, 2, v3
	v_or3_b32 v1, v16, v17, v18
	s_delay_alu instid0(VALU_DEP_1)
	v_lshlrev_b32_e32 v2, 2, v1
	scratch_load_b32 v19, v2, off
	v_dual_mov_b32 v2, 0 :: v_dual_add_nc_u32 v3, 0, v2
	s_waitcnt vmcnt(0)
	v_cmp_lt_i32_e32 vcc_lo, v12, v19
	v_cmpx_ge_i32_e64 v12, v19
	s_cbranch_execz .LBB2_14
; %bb.9:                                ;   in Loop: Header=BB2_6 Depth=2
	scratch_load_b32 v2, v3, off offset:4
	v_add_nc_u32_e32 v19, 4, v3
	s_mov_b32 s16, -1
	s_waitcnt vmcnt(0)
	v_cmp_lt_i32_e64 s0, v12, v2
	v_cmp_ge_i32_e64 s1, v12, v2
	v_mov_b32_e32 v2, 1
	s_delay_alu instid0(VALU_DEP_2)
	s_and_saveexec_b32 s15, s1
	s_cbranch_execz .LBB2_13
; %bb.10:                               ;   in Loop: Header=BB2_6 Depth=2
	scratch_load_b32 v2, v3, off offset:8
	v_add_nc_u32_e32 v19, 8, v3
	s_mov_b32 s17, -1
	s_waitcnt vmcnt(0)
	v_cmp_lt_i32_e64 s16, v12, v2
	v_cmp_ge_i32_e64 s1, v12, v2
	v_mov_b32_e32 v2, 2
	s_delay_alu instid0(VALU_DEP_2) | instskip(NEXT) | instid1(SALU_CYCLE_1)
	s_and_saveexec_b32 s18, s1
	s_xor_b32 s18, exec_lo, s18
	s_cbranch_execz .LBB2_12
; %bb.11:                               ;   in Loop: Header=BB2_6 Depth=2
	scratch_load_b32 v2, v3, off offset:12
	v_add_nc_u32_e32 v19, 12, v3
	s_and_not1_b32 s16, s16, exec_lo
	s_xor_b32 s17, exec_lo, -1
	s_waitcnt vmcnt(0)
	v_cmp_lt_i32_e64 s1, v12, v2
	v_mov_b32_e32 v2, 3
	s_delay_alu instid0(VALU_DEP_2) | instskip(NEXT) | instid1(SALU_CYCLE_1)
	s_and_b32 s1, s1, exec_lo
	s_or_b32 s16, s16, s1
.LBB2_12:                               ;   in Loop: Header=BB2_6 Depth=2
	s_or_b32 exec_lo, exec_lo, s18
	s_delay_alu instid0(SALU_CYCLE_1)
	s_and_not1_b32 s0, s0, exec_lo
	s_and_b32 s1, s16, exec_lo
	s_or_not1_b32 s16, s17, exec_lo
	s_or_b32 s0, s0, s1
.LBB2_13:                               ;   in Loop: Header=BB2_6 Depth=2
	s_or_b32 exec_lo, exec_lo, s15
	v_mov_b32_e32 v3, v19
	s_and_not1_b32 s15, vcc_lo, exec_lo
	s_and_b32 s0, s0, exec_lo
	s_or_not1_b32 s1, s16, exec_lo
	s_or_b32 vcc_lo, s15, s0
.LBB2_14:                               ;   in Loop: Header=BB2_6 Depth=2
	s_or_b32 exec_lo, exec_lo, s4
	s_and_saveexec_b32 s0, vcc_lo
	s_delay_alu instid0(SALU_CYCLE_1)
	s_xor_b32 s0, exec_lo, s0
	s_cbranch_execz .LBB2_5
; %bb.15:                               ;   in Loop: Header=BB2_6 Depth=2
	s_and_saveexec_b32 s0, s1
	s_cbranch_execz .LBB2_4
; %bb.16:                               ;   in Loop: Header=BB2_6 Depth=2
	v_add_nc_u32_e32 v19, v14, v17
	v_lshl_add_u32 v17, v1, 2, v13
	s_mov_b32 s1, 3
	s_mov_b32 s4, 0
	s_delay_alu instid0(VALU_DEP_2)
	v_add3_u32 v16, v19, v18, v16
	.p2align	6
.LBB2_17:                               ;   Parent Loop BB2_3 Depth=1
                                        ;     Parent Loop BB2_6 Depth=2
                                        ; =>    This Inner Loop Header: Depth=3
	s_delay_alu instid0(VALU_DEP_1) | instskip(SKIP_2) | instid1(VALU_DEP_2)
	v_add_nc_u32_e32 v18, s1, v16
	s_add_i32 s1, s1, -1
	v_add_nc_u32_e32 v22, 4, v17
	v_ashrrev_i32_e32 v19, 31, v18
	s_delay_alu instid0(VALU_DEP_1) | instskip(NEXT) | instid1(VALU_DEP_1)
	v_lshlrev_b64 v[18:19], 2, v[18:19]
	v_add_co_u32 v18, vcc_lo, s8, v18
	s_delay_alu instid0(VALU_DEP_2)
	v_add_co_ci_u32_e32 v19, vcc_lo, s9, v19, vcc_lo
	v_cmp_le_u32_e32 vcc_lo, s1, v2
	scratch_load_b32 v20, v17, off
	global_load_b32 v21, v[18:19], off offset:-4
	v_add_nc_u32_e32 v17, -4, v17
	s_waitcnt vmcnt(1)
	scratch_store_b32 v22, v20, off
	s_waitcnt vmcnt(0)
	global_store_b32 v[18:19], v21, off
	s_or_b32 s4, vcc_lo, s4
	s_delay_alu instid0(SALU_CYCLE_1)
	s_and_not1_b32 exec_lo, exec_lo, s4
	s_cbranch_execnz .LBB2_17
	s_branch .LBB2_4
.LBB2_18:
	s_endpgm
	.section	.rodata,"a",@progbits
	.p2align	6, 0x0
	.amdhsa_kernel _Z18k_cube_select_fouriiiPKiPi
		.amdhsa_group_segment_fixed_size 0
		.amdhsa_private_segment_fixed_size 144
		.amdhsa_kernarg_size 288
		.amdhsa_user_sgpr_count 15
		.amdhsa_user_sgpr_dispatch_ptr 0
		.amdhsa_user_sgpr_queue_ptr 0
		.amdhsa_user_sgpr_kernarg_segment_ptr 1
		.amdhsa_user_sgpr_dispatch_id 0
		.amdhsa_user_sgpr_private_segment_size 0
		.amdhsa_wavefront_size32 1
		.amdhsa_uses_dynamic_stack 0
		.amdhsa_enable_private_segment 1
		.amdhsa_system_sgpr_workgroup_id_x 1
		.amdhsa_system_sgpr_workgroup_id_y 0
		.amdhsa_system_sgpr_workgroup_id_z 0
		.amdhsa_system_sgpr_workgroup_info 0
		.amdhsa_system_vgpr_workitem_id 0
		.amdhsa_next_free_vgpr 23
		.amdhsa_next_free_sgpr 19
		.amdhsa_reserve_vcc 1
		.amdhsa_float_round_mode_32 0
		.amdhsa_float_round_mode_16_64 0
		.amdhsa_float_denorm_mode_32 3
		.amdhsa_float_denorm_mode_16_64 3
		.amdhsa_dx10_clamp 1
		.amdhsa_ieee_mode 1
		.amdhsa_fp16_overflow 0
		.amdhsa_workgroup_processor_mode 1
		.amdhsa_memory_ordered 1
		.amdhsa_forward_progress 0
		.amdhsa_shared_vgpr_count 0
		.amdhsa_exception_fp_ieee_invalid_op 0
		.amdhsa_exception_fp_denorm_src 0
		.amdhsa_exception_fp_ieee_div_zero 0
		.amdhsa_exception_fp_ieee_overflow 0
		.amdhsa_exception_fp_ieee_underflow 0
		.amdhsa_exception_fp_ieee_inexact 0
		.amdhsa_exception_int_div_zero 0
	.end_amdhsa_kernel
	.text
.Lfunc_end2:
	.size	_Z18k_cube_select_fouriiiPKiPi, .Lfunc_end2-_Z18k_cube_select_fouriiiPKiPi
                                        ; -- End function
	.section	.AMDGPU.csdata,"",@progbits
; Kernel info:
; codeLenInByte = 1168
; NumSgprs: 21
; NumVgprs: 23
; ScratchSize: 144
; MemoryBound: 0
; FloatMode: 240
; IeeeMode: 1
; LDSByteSize: 0 bytes/workgroup (compile time only)
; SGPRBlocks: 2
; VGPRBlocks: 2
; NumSGPRsForWavesPerEU: 21
; NumVGPRsForWavesPerEU: 23
; Occupancy: 16
; WaveLimiterHint : 0
; COMPUTE_PGM_RSRC2:SCRATCH_EN: 1
; COMPUTE_PGM_RSRC2:USER_SGPR: 15
; COMPUTE_PGM_RSRC2:TRAP_HANDLER: 0
; COMPUTE_PGM_RSRC2:TGID_X_EN: 1
; COMPUTE_PGM_RSRC2:TGID_Y_EN: 0
; COMPUTE_PGM_RSRC2:TGID_Z_EN: 0
; COMPUTE_PGM_RSRC2:TIDIG_COMP_CNT: 0
	.text
	.p2alignl 7, 3214868480
	.fill 96, 4, 3214868480
	.type	__hip_cuid_849368b3e75b52a9,@object ; @__hip_cuid_849368b3e75b52a9
	.section	.bss,"aw",@nobits
	.globl	__hip_cuid_849368b3e75b52a9
__hip_cuid_849368b3e75b52a9:
	.byte	0                               ; 0x0
	.size	__hip_cuid_849368b3e75b52a9, 1

	.ident	"AMD clang version 19.0.0git (https://github.com/RadeonOpenCompute/llvm-project roc-6.4.0 25133 c7fe45cf4b819c5991fe208aaa96edf142730f1d)"
	.section	".note.GNU-stack","",@progbits
	.addrsig
	.addrsig_sym __hip_cuid_849368b3e75b52a9
	.amdgpu_metadata
---
amdhsa.kernels:
  - .args:
      - .offset:         0
        .size:           4
        .value_kind:     by_value
      - .offset:         4
        .size:           4
        .value_kind:     by_value
      - .offset:         8
        .size:           4
        .value_kind:     by_value
      - .address_space:  global
        .offset:         16
        .size:           8
        .value_kind:     global_buffer
      - .address_space:  global
        .offset:         24
        .size:           8
        .value_kind:     global_buffer
      - .offset:         32
        .size:           4
        .value_kind:     hidden_block_count_x
      - .offset:         36
        .size:           4
        .value_kind:     hidden_block_count_y
      - .offset:         40
        .size:           4
        .value_kind:     hidden_block_count_z
      - .offset:         44
        .size:           2
        .value_kind:     hidden_group_size_x
      - .offset:         46
        .size:           2
        .value_kind:     hidden_group_size_y
      - .offset:         48
        .size:           2
        .value_kind:     hidden_group_size_z
      - .offset:         50
        .size:           2
        .value_kind:     hidden_remainder_x
      - .offset:         52
        .size:           2
        .value_kind:     hidden_remainder_y
      - .offset:         54
        .size:           2
        .value_kind:     hidden_remainder_z
      - .offset:         72
        .size:           8
        .value_kind:     hidden_global_offset_x
      - .offset:         80
        .size:           8
        .value_kind:     hidden_global_offset_y
      - .offset:         88
        .size:           8
        .value_kind:     hidden_global_offset_z
      - .offset:         96
        .size:           2
        .value_kind:     hidden_grid_dims
    .group_segment_fixed_size: 0
    .kernarg_segment_align: 8
    .kernarg_segment_size: 288
    .language:       OpenCL C
    .language_version:
      - 2
      - 0
    .max_flat_workgroup_size: 1024
    .name:           _Z13k_cube_selectiiiPKiPi
    .private_segment_fixed_size: 0
    .sgpr_count:     24
    .sgpr_spill_count: 0
    .symbol:         _Z13k_cube_selectiiiPKiPi.kd
    .uniform_work_group_size: 1
    .uses_dynamic_stack: false
    .vgpr_count:     20
    .vgpr_spill_count: 0
    .wavefront_size: 32
    .workgroup_processor_mode: 1
  - .args:
      - .offset:         0
        .size:           4
        .value_kind:     by_value
      - .offset:         4
        .size:           4
        .value_kind:     by_value
      - .offset:         8
        .size:           4
        .value_kind:     by_value
      - .address_space:  global
        .offset:         16
        .size:           8
        .value_kind:     global_buffer
      - .address_space:  global
        .offset:         24
        .size:           8
        .value_kind:     global_buffer
      - .offset:         32
        .size:           4
        .value_kind:     hidden_block_count_x
      - .offset:         36
        .size:           4
        .value_kind:     hidden_block_count_y
      - .offset:         40
        .size:           4
        .value_kind:     hidden_block_count_z
      - .offset:         44
        .size:           2
        .value_kind:     hidden_group_size_x
      - .offset:         46
        .size:           2
        .value_kind:     hidden_group_size_y
      - .offset:         48
        .size:           2
        .value_kind:     hidden_group_size_z
      - .offset:         50
        .size:           2
        .value_kind:     hidden_remainder_x
      - .offset:         52
        .size:           2
        .value_kind:     hidden_remainder_y
      - .offset:         54
        .size:           2
        .value_kind:     hidden_remainder_z
      - .offset:         72
        .size:           8
        .value_kind:     hidden_global_offset_x
      - .offset:         80
        .size:           8
        .value_kind:     hidden_global_offset_y
      - .offset:         88
        .size:           8
        .value_kind:     hidden_global_offset_z
      - .offset:         96
        .size:           2
        .value_kind:     hidden_grid_dims
    .group_segment_fixed_size: 0
    .kernarg_segment_align: 8
    .kernarg_segment_size: 288
    .language:       OpenCL C
    .language_version:
      - 2
      - 0
    .max_flat_workgroup_size: 1024
    .name:           _Z17k_cube_select_twoiiiPKiPi
    .private_segment_fixed_size: 0
    .sgpr_count:     36
    .sgpr_spill_count: 0
    .symbol:         _Z17k_cube_select_twoiiiPKiPi.kd
    .uniform_work_group_size: 1
    .uses_dynamic_stack: false
    .vgpr_count:     32
    .vgpr_spill_count: 0
    .wavefront_size: 32
    .workgroup_processor_mode: 1
  - .args:
      - .offset:         0
        .size:           4
        .value_kind:     by_value
      - .offset:         4
        .size:           4
        .value_kind:     by_value
      - .offset:         8
        .size:           4
        .value_kind:     by_value
      - .address_space:  global
        .offset:         16
        .size:           8
        .value_kind:     global_buffer
      - .address_space:  global
        .offset:         24
        .size:           8
        .value_kind:     global_buffer
      - .offset:         32
        .size:           4
        .value_kind:     hidden_block_count_x
      - .offset:         36
        .size:           4
        .value_kind:     hidden_block_count_y
      - .offset:         40
        .size:           4
        .value_kind:     hidden_block_count_z
      - .offset:         44
        .size:           2
        .value_kind:     hidden_group_size_x
      - .offset:         46
        .size:           2
        .value_kind:     hidden_group_size_y
      - .offset:         48
        .size:           2
        .value_kind:     hidden_group_size_z
      - .offset:         50
        .size:           2
        .value_kind:     hidden_remainder_x
      - .offset:         52
        .size:           2
        .value_kind:     hidden_remainder_y
      - .offset:         54
        .size:           2
        .value_kind:     hidden_remainder_z
      - .offset:         72
        .size:           8
        .value_kind:     hidden_global_offset_x
      - .offset:         80
        .size:           8
        .value_kind:     hidden_global_offset_y
      - .offset:         88
        .size:           8
        .value_kind:     hidden_global_offset_z
      - .offset:         96
        .size:           2
        .value_kind:     hidden_grid_dims
    .group_segment_fixed_size: 0
    .kernarg_segment_align: 8
    .kernarg_segment_size: 288
    .language:       OpenCL C
    .language_version:
      - 2
      - 0
    .max_flat_workgroup_size: 1024
    .name:           _Z18k_cube_select_fouriiiPKiPi
    .private_segment_fixed_size: 144
    .sgpr_count:     21
    .sgpr_spill_count: 0
    .symbol:         _Z18k_cube_select_fouriiiPKiPi.kd
    .uniform_work_group_size: 1
    .uses_dynamic_stack: false
    .vgpr_count:     23
    .vgpr_spill_count: 0
    .wavefront_size: 32
    .workgroup_processor_mode: 1
amdhsa.target:   amdgcn-amd-amdhsa--gfx1100
amdhsa.version:
  - 1
  - 2
...

	.end_amdgpu_metadata
